;; amdgpu-corpus repo=ROCm/rocFFT kind=compiled arch=gfx1030 opt=O3
	.text
	.amdgcn_target "amdgcn-amd-amdhsa--gfx1030"
	.amdhsa_code_object_version 6
	.protected	fft_rtc_back_len1331_factors_11_11_11_wgs_121_tpt_121_sp_op_CI_CI_sbrc_z_xy_aligned_dirReg ; -- Begin function fft_rtc_back_len1331_factors_11_11_11_wgs_121_tpt_121_sp_op_CI_CI_sbrc_z_xy_aligned_dirReg
	.globl	fft_rtc_back_len1331_factors_11_11_11_wgs_121_tpt_121_sp_op_CI_CI_sbrc_z_xy_aligned_dirReg
	.p2align	8
	.type	fft_rtc_back_len1331_factors_11_11_11_wgs_121_tpt_121_sp_op_CI_CI_sbrc_z_xy_aligned_dirReg,@function
fft_rtc_back_len1331_factors_11_11_11_wgs_121_tpt_121_sp_op_CI_CI_sbrc_z_xy_aligned_dirReg: ; @fft_rtc_back_len1331_factors_11_11_11_wgs_121_tpt_121_sp_op_CI_CI_sbrc_z_xy_aligned_dirReg
; %bb.0:
	s_load_dwordx8 s[8:15], s[4:5], 0x0
	v_mov_b32_e32 v1, 0x16b
	v_cmp_gt_u32_e32 vcc_lo, 0x3c8, v0
	v_mov_b32_e32 v3, 0x1e4
	v_mov_b32_e32 v4, 0x25d
	v_mov_b32_e32 v5, 0x2d6
	v_mov_b32_e32 v9, 0x34f
	v_cndmask_b32_e32 v1, 0xfffffc38, v1, vcc_lo
	v_cmp_gt_u32_e32 vcc_lo, 0x34f, v0
	v_add_nc_u32_e32 v7, 0x79, v0
	v_add_nc_u32_e32 v6, 0xf2, v0
	v_mov_b32_e32 v41, 0
	v_lshl_add_u32 v42, v0, 3, 0
	s_waitcnt lgkmcnt(0)
	s_load_dwordx4 s[0:3], s[12:13], 0x8
	s_mov_b32 s13, 0
	s_waitcnt lgkmcnt(0)
	s_mul_i32 s1, s2, s0
	v_cvt_f32_u32_e32 v11, s0
	v_cvt_f32_u32_e32 v2, s1
	s_clause 0x1
	s_load_dwordx4 s[16:19], s[4:5], 0x58
	s_load_dwordx2 s[2:3], s[4:5], 0x20
	s_sub_i32 s5, 0, s1
	s_load_dwordx4 s[24:27], s[14:15], 0x0
	v_rcp_iflag_f32_e32 v12, v11
	v_rcp_iflag_f32_e32 v8, v2
	v_cndmask_b32_e32 v2, 0xfffffcb1, v3, vcc_lo
	v_cmp_gt_u32_e32 vcc_lo, 0x2d6, v0
	v_cndmask_b32_e32 v3, 0xfffffd2a, v4, vcc_lo
	v_cmp_gt_u32_e32 vcc_lo, 0x25d, v0
	v_mul_f32_e32 v12, 0x4f7ffffe, v12
	v_mul_f32_e32 v8, 0x4f7ffffe, v8
	v_cndmask_b32_e32 v4, 0xfffffda3, v5, vcc_lo
	v_cvt_u32_f32_e32 v12, v12
	v_cvt_u32_f32_e32 v10, v8
	v_cmp_gt_u32_e32 vcc_lo, 0x1e4, v0
	v_add_nc_u32_e32 v8, v1, v0
	v_add_nc_u32_e32 v11, v4, v0
	v_lshlrev_b32_e32 v1, 3, v1
	v_readfirstlane_b32 s4, v10
	v_cndmask_b32_e32 v5, 0xfffffe1c, v9, vcc_lo
	v_add_nc_u32_e32 v9, v2, v0
	v_add_nc_u32_e32 v10, v3, v0
	v_cmp_lt_u32_e32 vcc_lo, 0x3c7, v0
	s_mul_i32 s5, s5, s4
	v_add_nc_u32_e32 v34, v5, v0
	s_mul_hi_u32 s5, s4, s5
	v_lshlrev_b32_e32 v2, 3, v2
	s_add_i32 s4, s4, s5
	v_lshlrev_b32_e32 v3, 3, v3
	s_mul_hi_u32 s5, s6, s4
	s_load_dword s4, s[14:15], 0x10
	s_mul_i32 s7, s5, s1
	s_add_i32 s12, s5, 1
	s_sub_i32 s7, s6, s7
	s_waitcnt lgkmcnt(0)
	v_mad_u64_u32 v[14:15], null, s24, v7, 0
	s_sub_i32 s20, s7, s1
	s_cmp_ge_u32 s7, s1
	v_mad_u64_u32 v[16:17], null, s24, v6, 0
	s_cselect_b32 s12, s12, s5
	s_cselect_b32 s5, s20, s7
	s_add_i32 s7, s12, 1
	s_cmp_ge_u32 s5, s1
	v_readfirstlane_b32 s5, v12
	s_cselect_b32 s27, s7, s12
	s_sub_i32 s7, 0, s0
	s_mul_i32 s1, s27, s1
	s_load_dwordx4 s[20:23], s[2:3], 0x0
	s_mul_i32 s7, s7, s5
	s_sub_i32 s1, s6, s1
	s_mul_hi_u32 s7, s5, s7
	s_waitcnt lgkmcnt(0)
	s_load_dword s23, s[2:3], 0x10
	s_add_i32 s5, s5, s7
	v_mad_u64_u32 v[12:13], null, s24, v0, 0
	s_mul_hi_u32 s7, s1, s5
	s_mul_hi_u32 s5, s6, s5
	s_mul_i32 s12, s7, s0
	s_mul_i32 s5, s5, s0
	s_sub_i32 s1, s1, s12
	s_add_i32 s12, s7, 1
	s_sub_i32 s28, s1, s0
	s_cmp_ge_u32 s1, s0
	v_mad_u64_u32 v[18:19], null, s24, v8, 0
	s_cselect_b32 s7, s12, s7
	s_cselect_b32 s1, s28, s1
	s_add_i32 s12, s7, 1
	s_cmp_ge_u32 s1, s0
	v_mad_u64_u32 v[20:21], null, s24, v9, 0
	s_cselect_b32 s28, s12, s7
	s_sub_i32 s1, s6, s5
	v_mad_u64_u32 v[22:23], null, s24, v10, 0
	s_sub_i32 s5, s1, s0
	s_cmp_ge_u32 s1, s0
	v_mad_u64_u32 v[24:25], null, s24, v11, 0
	s_cselect_b32 s1, s5, s1
	v_mad_u64_u32 v[30:31], null, s25, v0, v[13:14]
	s_sub_i32 s5, s1, s0
	s_cmp_ge_u32 s1, s0
	s_mul_i32 s0, s28, s4
	s_cselect_b32 s29, s5, s1
	s_lshl_b64 s[4:5], s[10:11], 3
	s_mul_i32 s1, s29, s26
	s_mul_i32 s6, s21, s29
	s_mul_hi_u32 s7, s20, s29
	s_add_i32 s12, s1, s0
	s_add_i32 s11, s7, s6
	s_add_u32 s0, s14, s4
	s_addc_u32 s1, s15, s5
	v_mad_u64_u32 v[31:32], null, s25, v7, v[15:16]
	s_load_dwordx2 s[6:7], s[0:1], 0x0
	v_mad_u64_u32 v[6:7], null, s25, v6, v[17:18]
	v_mad_u64_u32 v[7:8], null, s25, v8, v[19:20]
	v_cndmask_b32_e64 v40, 0, s26, vcc_lo
	v_mad_u64_u32 v[8:9], null, s25, v9, v[21:22]
	v_mad_u64_u32 v[9:10], null, s25, v10, v[23:24]
	v_mov_b32_e32 v13, v30
	v_mov_b32_e32 v15, v31
	v_lshlrev_b64 v[26:27], 3, v[40:41]
	v_mov_b32_e32 v17, v6
	v_mov_b32_e32 v19, v7
	v_lshlrev_b64 v[6:7], 3, v[12:13]
	;; [unrolled: 3-line block ×3, first 2 shown]
	v_mad_u64_u32 v[10:11], null, s25, v11, v[25:26]
	s_waitcnt lgkmcnt(0)
	s_mul_i32 s7, s7, s27
	s_mul_hi_u32 s10, s6, s27
	s_mul_i32 s6, s6, s27
	s_add_i32 s7, s10, s7
	s_add_u32 s2, s2, s4
	s_addc_u32 s3, s3, s5
	v_lshlrev_b64 v[11:12], 3, v[16:17]
	s_load_dwordx2 s[14:15], s[2:3], 0x0
	s_lshl_b64 s[2:3], s[6:7], 3
	v_lshlrev_b64 v[13:14], 3, v[18:19]
	v_lshlrev_b64 v[15:16], 3, v[20:21]
	v_cmp_lt_u32_e64 s0, 0x34e, v0
	v_cmp_lt_u32_e64 s1, 0x2d5, v0
	v_lshlrev_b64 v[17:18], 3, v[22:23]
	v_mov_b32_e32 v21, 0x3c8
	v_mad_u64_u32 v[19:20], null, s24, v34, 0
	v_cndmask_b32_e64 v40, 0, s26, s0
	v_mov_b32_e32 v25, v10
	v_mov_b32_e32 v30, 0x4ba
	v_lshlrev_b32_e32 v4, 3, v4
	v_lshlrev_b32_e32 v5, 3, v5
	v_lshlrev_b64 v[28:29], 3, v[40:41]
	v_cndmask_b32_e64 v40, 0, s26, s1
	v_mov_b32_e32 v10, v20
	s_waitcnt lgkmcnt(0)
	s_mul_i32 s4, s15, s27
	s_mul_hi_u32 s5, s14, s27
	v_lshlrev_b64 v[32:33], 3, v[40:41]
	s_add_i32 s15, s5, s4
	s_add_u32 s4, s16, s2
	s_addc_u32 s5, s17, s3
	s_lshl_b64 s[2:3], s[12:13], 3
	s_mul_i32 s12, s28, s22
	s_add_u32 s7, s4, s2
	s_addc_u32 s10, s5, s3
	v_add_co_u32 v6, s2, s7, v6
	v_add_co_ci_u32_e64 v7, s2, s10, v7, s2
	v_add_co_u32 v8, s2, s7, v8
	v_add_co_ci_u32_e64 v9, s2, s10, v9, s2
	;; [unrolled: 2-line block ×6, first 2 shown]
	s_clause 0x3
	global_load_dwordx2 v[6:7], v[6:7], off
	global_load_dwordx2 v[8:9], v[8:9], off
	;; [unrolled: 1-line block ×4, first 2 shown]
	v_add_co_u32 v15, s2, v15, v28
	v_add_co_ci_u32_e64 v16, s2, v16, v29, s2
	v_add_co_u32 v17, s2, s7, v17
	v_add_co_ci_u32_e64 v18, s2, s10, v18, s2
	v_mov_b32_e32 v29, 0x441
	v_add_co_u32 v17, s2, v17, v32
	v_add_co_ci_u32_e64 v18, s2, v18, v33, s2
	v_cmp_gt_u32_e64 s2, 0x16b, v0
	s_mul_i32 s14, s14, s27
	v_cndmask_b32_e64 v35, 0xfffffe95, v21, s2
	v_cmp_lt_u32_e64 s2, 0x25c, v0
	v_lshlrev_b64 v[20:21], 3, v[24:25]
	v_add_nc_u32_e32 v27, v35, v0
	v_cndmask_b32_e64 v40, 0, s26, s2
	v_mad_u64_u32 v[25:26], null, s24, v27, 0
	s_waitcnt vmcnt(1)
	v_mad_u64_u32 v[22:23], null, s25, v34, v[10:11]
	v_lshlrev_b64 v[23:24], 3, v[40:41]
	v_add_co_u32 v10, s3, s7, v20
	v_add_co_ci_u32_e64 v28, s3, s10, v21, s3
	v_add_co_u32 v21, s3, v10, v23
	v_mov_b32_e32 v20, v22
	v_add_co_ci_u32_e64 v22, s3, v28, v24, s3
	v_cmp_gt_u32_e64 s3, 0xf2, v0
	v_mov_b32_e32 v10, v26
	v_lshlrev_b64 v[19:20], 3, v[19:20]
	v_cndmask_b32_e64 v34, 0xffffff0e, v29, s3
	v_cmp_gt_u32_e64 s3, 0x79, v0
	v_mad_u64_u32 v[23:24], null, s25, v27, v[10:11]
	v_add_co_u32 v33, s4, s7, v19
	v_cndmask_b32_e64 v36, 0xffffff87, v30, s3
	v_add_nc_u32_e32 v31, v34, v0
	v_cmp_lt_u32_e64 s3, 0x1e3, v0
	v_add_co_ci_u32_e64 v37, s4, s10, v20, s4
	v_add_nc_u32_e32 v32, v36, v0
	v_mad_u64_u32 v[27:28], null, s24, v31, 0
	v_cndmask_b32_e64 v40, 0, s26, s3
	v_mov_b32_e32 v26, v23
	v_mad_u64_u32 v[29:30], null, s24, v32, 0
	v_cmp_lt_u32_e64 s4, 0x16a, v0
	v_lshlrev_b64 v[19:20], 3, v[40:41]
	v_mov_b32_e32 v10, v28
	v_lshlrev_b64 v[24:25], 3, v[25:26]
	v_cndmask_b32_e64 v40, 0, s26, s4
	v_mov_b32_e32 v23, v30
	v_mad_u64_u32 v[30:31], null, s25, v31, v[10:11]
	v_add_co_u32 v19, s5, v33, v19
	v_mad_u64_u32 v[31:32], null, s25, v32, v[23:24]
	v_add_co_ci_u32_e64 v20, s5, v37, v20, s5
	v_lshlrev_b64 v[32:33], 3, v[40:41]
	v_mov_b32_e32 v28, v30
	v_add_co_u32 v10, s5, s7, v24
	v_add_co_ci_u32_e64 v26, s5, s10, v25, s5
	v_lshlrev_b64 v[23:24], 3, v[27:28]
	v_add_co_u32 v25, s5, v10, v32
	v_mov_b32_e32 v30, v31
	v_add_co_ci_u32_e64 v26, s5, v26, v33, s5
	v_cmp_lt_u32_e64 s5, 0xf1, v0
	v_add_co_u32 v10, s6, s7, v23
	v_lshlrev_b64 v[27:28], 3, v[29:30]
	v_add_co_ci_u32_e64 v29, s6, s10, v24, s6
	v_cndmask_b32_e64 v40, 0, s26, s5
	v_cmp_lt_u32_e64 s6, 0x78, v0
	v_cndmask_b32_e64 v33, 0, 1, s1
	v_add_co_u32 v30, s7, s7, v27
	v_lshlrev_b64 v[23:24], 3, v[40:41]
	v_cndmask_b32_e64 v40, 0, s26, s6
	v_add_co_ci_u32_e64 v31, s7, s10, v28, s7
	v_lshlrev_b32_e32 v32, 3, v34
	v_lshlrev_b32_e32 v34, 3, v36
	v_lshlrev_b64 v[27:28], 3, v[40:41]
	v_add_co_u32 v23, s7, v10, v23
	v_add_co_ci_u32_e64 v24, s7, v29, v24, s7
	v_cndmask_b32_e64 v10, 0, 1, vcc_lo
	v_add_co_u32 v27, s7, v30, v27
	v_add_co_ci_u32_e64 v28, s7, v31, v28, s7
	s_clause 0x6
	global_load_dwordx2 v[15:16], v[15:16], off
	global_load_dwordx2 v[17:18], v[17:18], off
	;; [unrolled: 1-line block ×7, first 2 shown]
	v_cndmask_b32_e64 v28, 0, 1, s0
	v_lshlrev_b32_e32 v31, 3, v35
	v_lshlrev_b32_e32 v10, 3, v10
	v_cndmask_b32_e64 v35, 0, 1, s2
	v_cndmask_b32_e64 v36, 0, 1, s5
	v_lshlrev_b32_e32 v28, 3, v28
	v_cndmask_b32_e64 v37, 0, 1, s6
	v_add3_u32 v1, v42, v1, v10
	v_lshlrev_b32_e32 v10, 3, v33
	v_lshlrev_b32_e32 v33, 3, v35
	v_add3_u32 v2, v42, v2, v28
	v_cndmask_b32_e64 v28, 0, 1, s3
	v_cndmask_b32_e64 v35, 0, 1, s4
	v_add3_u32 v3, v42, v3, v10
	v_add_nc_u32_e32 v25, 0x400, v42
	v_add3_u32 v4, v42, v4, v33
	v_lshlrev_b32_e32 v10, 3, v28
	v_lshlrev_b32_e32 v28, 3, v35
	;; [unrolled: 1-line block ×4, first 2 shown]
	s_mul_i32 s10, s20, s29
	v_add3_u32 v5, v42, v5, v10
	v_add3_u32 v10, v42, v31, v28
	;; [unrolled: 1-line block ×4, first 2 shown]
	s_lshl_b64 s[0:1], s[10:11], 3
	ds_write2_b64 v42, v[6:7], v[8:9] offset1:121
	ds_write_b64 v42, v[11:12] offset:1936
	s_waitcnt vmcnt(7)
	ds_write_b64 v1, v[13:14]
	s_waitcnt vmcnt(6)
	ds_write_b64 v2, v[15:16]
	s_waitcnt vmcnt(5)
	ds_write_b64 v3, v[17:18]
	s_waitcnt vmcnt(4)
	ds_write_b64 v4, v[21:22]
	s_waitcnt vmcnt(3)
	ds_write_b64 v5, v[19:20]
	s_waitcnt vmcnt(2)
	ds_write_b64 v10, v[29:30]
	s_waitcnt vmcnt(1)
	ds_write_b64 v28, v[23:24]
	s_waitcnt vmcnt(0)
	ds_write_b64 v31, v[26:27]
	v_add_nc_u32_e32 v26, 0x1c00, v42
	s_waitcnt lgkmcnt(0)
	s_barrier
	buffer_gl0_inv
	ds_read2_b64 v[5:8], v42 offset1:121
	ds_read_b64 v[13:14], v42 offset:9680
	ds_read2_b64 v[9:12], v25 offset0:114 offset1:235
	ds_read2_b64 v[1:4], v26 offset0:72 offset1:193
	v_add_nc_u32_e32 v27, 0xc00, v42
	v_add_nc_u32_e32 v28, 0x1400, v42
	ds_read2_b64 v[15:18], v27 offset0:100 offset1:221
	ds_read2_b64 v[19:22], v28 offset0:86 offset1:207
	s_waitcnt lgkmcnt(0)
	s_barrier
	buffer_gl0_inv
	s_add_u32 s2, s18, s0
	s_addc_u32 s3, s19, s1
	s_lshl_b64 s[0:1], s[12:13], 3
	s_add_u32 s2, s2, s0
	s_addc_u32 s3, s3, s1
	s_lshl_b64 s[0:1], s[14:15], 3
	s_add_u32 s0, s2, s0
	v_add_f32_e32 v23, v5, v7
	v_add_f32_e32 v24, v6, v8
	;; [unrolled: 1-line block ×3, first 2 shown]
	v_sub_f32_e32 v8, v8, v14
	v_add_f32_e32 v29, v13, v7
	v_add_f32_e32 v31, v3, v9
	v_add_f32_e32 v32, v4, v10
	v_sub_f32_e32 v33, v9, v3
	v_sub_f32_e32 v34, v10, v4
	v_add_f32_e32 v9, v23, v9
	v_add_f32_e32 v10, v24, v10
	v_mul_f32_e32 v23, 0xbf0a6770, v8
	v_mul_f32_e32 v45, 0xbf68dda4, v8
	v_mul_f32_e32 v47, 0xbf7d64f0, v8
	v_mul_f32_e32 v49, 0xbf4178ce, v8
	v_mul_f32_e32 v8, 0xbe903f40, v8
	v_add_f32_e32 v35, v1, v11
	v_sub_f32_e32 v37, v11, v1
	v_add_f32_e32 v9, v9, v11
	v_add_f32_e32 v10, v10, v12
	v_fmamk_f32 v11, v29, 0x3f575c64, v23
	v_fma_f32 v23, 0x3f575c64, v29, -v23
	v_fmamk_f32 v75, v29, 0x3ed4b147, v45
	v_fma_f32 v45, 0x3ed4b147, v29, -v45
	v_fmamk_f32 v77, v29, 0xbe11bafb, v47
	v_fma_f32 v47, 0xbe11bafb, v29, -v47
	v_fmamk_f32 v79, v29, 0xbf27a4f4, v49
	v_fma_f32 v49, 0xbf27a4f4, v29, -v49
	v_fmamk_f32 v81, v29, 0xbf75a155, v8
	v_fma_f32 v8, 0xbf75a155, v29, -v8
	v_add_f32_e32 v11, v5, v11
	v_add_f32_e32 v23, v5, v23
	;; [unrolled: 1-line block ×12, first 2 shown]
	v_sub_f32_e32 v7, v7, v13
	v_mul_f32_e32 v24, 0x3f575c64, v30
	v_mul_f32_e32 v46, 0x3ed4b147, v30
	;; [unrolled: 1-line block ×4, first 2 shown]
	v_add_f32_e32 v8, v8, v17
	v_add_f32_e32 v9, v9, v18
	;; [unrolled: 1-line block ×3, first 2 shown]
	v_sub_f32_e32 v38, v12, v2
	v_mul_f32_e32 v30, 0xbf75a155, v30
	v_mul_f32_e32 v51, 0xbf68dda4, v34
	;; [unrolled: 1-line block ×8, first 2 shown]
	v_fmamk_f32 v12, v7, 0x3f0a6770, v24
	v_fmac_f32_e32 v24, 0xbf0a6770, v7
	v_fmamk_f32 v76, v7, 0x3f68dda4, v46
	v_fmac_f32_e32 v46, 0xbf68dda4, v7
	v_fmamk_f32 v78, v7, 0x3f7d64f0, v48
	v_fmac_f32_e32 v48, 0xbf7d64f0, v7
	v_fmamk_f32 v80, v7, 0x3f4178ce, v50
	v_add_f32_e32 v8, v8, v19
	v_add_f32_e32 v9, v9, v20
	v_sub_f32_e32 v40, v16, v22
	v_add_f32_e32 v43, v22, v16
	v_mul_f32_e32 v57, 0x3f7d64f0, v34
	v_mul_f32_e32 v34, 0x3f0a6770, v34
	;; [unrolled: 1-line block ×11, first 2 shown]
	v_fmac_f32_e32 v50, 0xbf4178ce, v7
	v_fmamk_f32 v82, v7, 0x3e903f40, v30
	v_fmac_f32_e32 v30, 0xbe903f40, v7
	v_fmamk_f32 v7, v31, 0x3ed4b147, v51
	v_fmamk_f32 v29, v33, 0x3f68dda4, v52
	v_fma_f32 v51, 0x3ed4b147, v31, -v51
	v_fmac_f32_e32 v52, 0xbf68dda4, v33
	v_fmamk_f32 v83, v31, 0xbf27a4f4, v53
	v_fmamk_f32 v84, v33, 0x3f4178ce, v54
	v_fma_f32 v53, 0xbf27a4f4, v31, -v53
	;; [unrolled: 4-line block ×3, first 2 shown]
	v_fmac_f32_e32 v56, 0x3e903f40, v33
	v_fmamk_f32 v88, v33, 0xbf7d64f0, v58
	v_add_f32_e32 v12, v6, v12
	v_add_f32_e32 v24, v6, v24
	v_add_f32_e32 v46, v6, v46
	v_add_f32_e32 v48, v6, v48
	v_add_f32_e32 v80, v6, v80
	v_add_f32_e32 v8, v8, v21
	v_add_f32_e32 v9, v9, v22
	v_add_f32_e32 v39, v21, v15
	v_sub_f32_e32 v44, v15, v21
	v_mul_f32_e32 v65, 0x3ed4b147, v36
	v_mul_f32_e32 v70, 0xbe11bafb, v43
	v_mul_f32_e32 v71, 0xbf0a6770, v40
	v_mul_f32_e32 v74, 0xbf75a155, v43
	v_fmamk_f32 v87, v31, 0xbe11bafb, v57
	v_fma_f32 v57, 0xbe11bafb, v31, -v57
	v_fmac_f32_e32 v58, 0x3f7d64f0, v33
	v_fmamk_f32 v89, v31, 0x3f575c64, v34
	v_fma_f32 v31, 0x3f575c64, v31, -v34
	v_fmamk_f32 v34, v33, 0xbf0a6770, v32
	v_fmac_f32_e32 v32, 0x3f0a6770, v33
	v_fmamk_f32 v33, v35, 0xbe11bafb, v59
	v_fma_f32 v59, 0xbe11bafb, v35, -v59
	v_fmamk_f32 v90, v35, 0xbf75a155, v60
	v_fma_f32 v60, 0xbf75a155, v35, -v60
	;; [unrolled: 2-line block ×5, first 2 shown]
	v_fmamk_f32 v38, v37, 0x3f7d64f0, v63
	v_fmamk_f32 v94, v37, 0xbe903f40, v64
	v_fmac_f32_e32 v64, 0x3e903f40, v37
	v_fmamk_f32 v96, v37, 0x3f0a6770, v66
	v_add_f32_e32 v7, v7, v11
	v_add_f32_e32 v10, v29, v12
	;; [unrolled: 1-line block ×11, first 2 shown]
	v_mul_f32_e32 v36, 0xbf27a4f4, v36
	v_mul_f32_e32 v67, 0xbf4178ce, v40
	;; [unrolled: 1-line block ×4, first 2 shown]
	v_fmamk_f32 v95, v37, 0xbf68dda4, v65
	v_fmac_f32_e32 v65, 0x3f68dda4, v37
	v_fmamk_f32 v100, v44, 0xbf7d64f0, v70
	v_fmac_f32_e32 v70, 0x3f7d64f0, v44
	v_fmamk_f32 v101, v39, 0x3f575c64, v71
	v_fma_f32 v71, 0x3f575c64, v39, -v71
	v_add_f32_e32 v76, v6, v76
	v_add_f32_e32 v78, v6, v78
	;; [unrolled: 1-line block ×16, first 2 shown]
	v_fmamk_f32 v3, v44, 0x3e903f40, v74
	v_mul_f32_e32 v4, 0x3f68dda4, v40
	v_mul_f32_e32 v68, 0xbf27a4f4, v43
	v_fmac_f32_e32 v63, 0xbf7d64f0, v37
	v_fmac_f32_e32 v66, 0xbf0a6770, v37
	v_fmamk_f32 v97, v37, 0x3f4178ce, v36
	v_fmac_f32_e32 v36, 0xbf4178ce, v37
	v_fmamk_f32 v37, v39, 0xbf27a4f4, v67
	v_fmamk_f32 v102, v44, 0x3f0a6770, v72
	v_fmac_f32_e32 v72, 0xbf0a6770, v44
	v_add_f32_e32 v6, v32, v6
	v_add_f32_e32 v7, v33, v7
	;; [unrolled: 1-line block ×11, first 2 shown]
	v_fma_f32 v8, 0xbf75a155, v39, -v73
	v_add_f32_e32 v31, v3, v38
	v_fmamk_f32 v3, v39, 0x3ed4b147, v4
	v_mul_f32_e32 v13, 0x3ed4b147, v43
	v_sub_f32_e32 v35, v18, v20
	v_add_f32_e32 v20, v20, v18
	v_mul_f32_e32 v69, 0x3f7d64f0, v40
	v_fmamk_f32 v98, v44, 0x3f4178ce, v68
	v_fma_f32 v67, 0xbf27a4f4, v39, -v67
	v_fmac_f32_e32 v68, 0xbf4178ce, v44
	v_add_f32_e32 v15, v83, v75
	v_add_f32_e32 v16, v84, v76
	;; [unrolled: 1-line block ×12, first 2 shown]
	v_fmamk_f32 v3, v44, 0xbf68dda4, v13
	v_add_f32_e32 v37, v19, v17
	v_mul_f32_e32 v8, 0xbe903f40, v35
	v_fma_f32 v4, 0x3ed4b147, v39, -v4
	v_fmac_f32_e32 v13, 0x3f68dda4, v44
	v_sub_f32_e32 v38, v17, v19
	v_mul_f32_e32 v14, 0xbf75a155, v20
	v_fmamk_f32 v99, v39, 0xbe11bafb, v69
	v_fma_f32 v69, 0xbe11bafb, v39, -v69
	v_fmamk_f32 v103, v39, 0xbf75a155, v73
	v_add_f32_e32 v15, v90, v15
	v_add_f32_e32 v16, v94, v16
	;; [unrolled: 1-line block ×6, first 2 shown]
	v_fmamk_f32 v17, v37, 0xbf75a155, v8
	v_add_f32_e32 v39, v4, v5
	v_add_f32_e32 v6, v13, v6
	v_fmamk_f32 v4, v38, 0x3e903f40, v14
	v_fma_f32 v5, 0xbf75a155, v37, -v8
	v_mul_f32_e32 v13, 0x3f0a6770, v35
	v_fmac_f32_e32 v14, 0xbe903f40, v38
	v_add_f32_e32 v30, v86, v78
	v_add_f32_e32 v10, v98, v10
	;; [unrolled: 1-line block ×7, first 2 shown]
	v_mul_f32_e32 v17, 0x3f575c64, v20
	v_add_f32_e32 v7, v5, v11
	v_fmamk_f32 v5, v37, 0x3f575c64, v13
	v_add_f32_e32 v8, v14, v12
	v_mul_f32_e32 v14, 0xbf4178ce, v35
	v_fma_f32 v11, 0x3f575c64, v37, -v13
	v_add_f32_e32 v30, v95, v30
	v_add_f32_e32 v4, v4, v10
	v_fmamk_f32 v10, v38, 0xbf0a6770, v17
	v_add_f32_e32 v9, v5, v9
	v_fmac_f32_e32 v17, 0x3f0a6770, v38
	v_fmamk_f32 v5, v37, 0xbf27a4f4, v14
	v_add_f32_e32 v11, v11, v16
	v_mul_f32_e32 v16, 0xbf27a4f4, v20
	v_add_f32_e32 v23, v102, v30
	v_add_f32_e32 v10, v10, v15
	;; [unrolled: 1-line block ×4, first 2 shown]
	v_mul_f32_e32 v5, 0x3f68dda4, v35
	v_mul_f32_e32 v21, 0x3ed4b147, v20
	v_fmamk_f32 v15, v38, 0x3f4178ce, v16
	v_add_f32_e32 v50, v58, v50
	v_add_f32_e32 v30, v103, v33
	v_fma_f32 v17, 0xbf27a4f4, v37, -v14
	v_fmamk_f32 v18, v37, 0x3ed4b147, v5
	v_fmamk_f32 v19, v38, 0xbf68dda4, v21
	v_add_f32_e32 v14, v15, v23
	v_fma_f32 v5, 0x3ed4b147, v37, -v5
	v_mul_u32_u24_e32 v23, 0x1746, v0
	v_add_f32_e32 v46, v66, v50
	v_fmac_f32_e32 v74, 0xbe903f40, v44
	v_fmac_f32_e32 v16, 0xbf4178ce, v38
	v_add_f32_e32 v15, v17, v24
	v_add_f32_e32 v17, v18, v30
	;; [unrolled: 1-line block ×3, first 2 shown]
	v_mul_f32_e32 v22, 0xbf7d64f0, v35
	v_mul_f32_e32 v24, 0xbe11bafb, v20
	v_add_f32_e32 v19, v5, v32
	v_lshrrev_b32_e32 v5, 16, v23
	v_add_f32_e32 v33, v74, v46
	v_add_f32_e32 v16, v16, v29
	v_fmac_f32_e32 v21, 0x3f68dda4, v38
	v_fmamk_f32 v23, v38, 0x3f7d64f0, v24
	v_fma_f32 v29, 0xbe11bafb, v37, -v22
	v_fmac_f32_e32 v24, 0xbf7d64f0, v38
	v_mul_lo_u16 v30, v5, 11
	v_add_f32_e32 v20, v21, v33
	v_fmamk_f32 v21, v37, 0xbe11bafb, v22
	v_add_f32_e32 v22, v23, v34
	v_add_f32_e32 v23, v29, v39
	;; [unrolled: 1-line block ×3, first 2 shown]
	v_mad_u32_u24 v29, 0x58, v0, 0
	v_sub_nc_u16 v6, v0, v30
	v_mov_b32_e32 v30, 10
	v_add_f32_e32 v21, v21, v36
	s_addc_u32 s1, s3, s1
	ds_write2_b64 v29, v[1:2], v[3:4] offset1:1
	ds_write2_b64 v29, v[9:10], v[13:14] offset0:2 offset1:3
	ds_write2_b64 v29, v[17:18], v[21:22] offset0:4 offset1:5
	;; [unrolled: 1-line block ×4, first 2 shown]
	v_mul_u32_u24_sdwa v1, v6, v30 dst_sel:DWORD dst_unused:UNUSED_PAD src0_sel:WORD_0 src1_sel:DWORD
	ds_write_b64 v29, v[7:8] offset:80
	s_waitcnt lgkmcnt(0)
	s_barrier
	buffer_gl0_inv
	v_lshlrev_b32_e32 v1, 3, v1
	s_clause 0x4
	global_load_dwordx4 v[14:17], v1, s[8:9]
	global_load_dwordx4 v[30:33], v1, s[8:9] offset:16
	global_load_dwordx4 v[34:37], v1, s[8:9] offset:32
	;; [unrolled: 1-line block ×4, first 2 shown]
	ds_read2_b64 v[1:4], v42 offset1:121
	ds_read2_b64 v[51:54], v25 offset0:114 offset1:235
	ds_read2_b64 v[55:58], v27 offset0:100 offset1:221
	;; [unrolled: 1-line block ×4, first 2 shown]
	ds_read_b64 v[21:22], v42 offset:9680
	s_waitcnt vmcnt(0) lgkmcnt(0)
	s_barrier
	buffer_gl0_inv
	v_mul_f32_e32 v13, v15, v3
	v_mul_f32_e32 v24, v15, v4
	;; [unrolled: 1-line block ×16, first 2 shown]
	v_fma_f32 v44, v14, v4, -v13
	v_mul_f32_e32 v38, v63, v46
	v_mul_f32_e32 v9, v66, v48
	;; [unrolled: 1-line block ×3, first 2 shown]
	v_fmac_f32_e32 v24, v14, v3
	v_fma_f32 v29, v16, v52, -v17
	v_fma_f32 v20, v30, v54, -v18
	;; [unrolled: 1-line block ×5, first 2 shown]
	v_add_f32_e32 v31, v44, v2
	v_mul_f32_e32 v11, v64, v46
	v_fmac_f32_e32 v23, v16, v51
	v_fmac_f32_e32 v19, v30, v53
	;; [unrolled: 1-line block ×4, first 2 shown]
	v_fma_f32 v17, v34, v58, -v33
	v_fma_f32 v16, v60, v36, -v35
	;; [unrolled: 1-line block ×3, first 2 shown]
	v_fmac_f32_e32 v9, v65, v47
	v_fmac_f32_e32 v10, v21, v49
	v_add_f32_e32 v30, v24, v1
	v_sub_f32_e32 v32, v44, v3
	v_add_f32_e32 v33, v44, v3
	v_sub_f32_e32 v34, v29, v4
	v_add_f32_e32 v35, v29, v4
	v_add_f32_e32 v29, v31, v29
	v_fmac_f32_e32 v8, v59, v36
	v_fma_f32 v14, v62, v43, -v37
	v_fmac_f32_e32 v11, v63, v45
	v_add_f32_e32 v21, v24, v10
	v_sub_f32_e32 v22, v24, v10
	v_add_f32_e32 v24, v23, v9
	v_sub_f32_e32 v36, v23, v9
	v_sub_f32_e32 v37, v20, v13
	v_add_f32_e32 v39, v20, v13
	v_mul_f32_e32 v50, 0xbf0a6770, v32
	v_mul_f32_e32 v51, 0x3f575c64, v33
	;; [unrolled: 1-line block ×10, first 2 shown]
	v_add_f32_e32 v23, v30, v23
	v_add_f32_e32 v20, v29, v20
	v_fmac_f32_e32 v12, v61, v43
	v_add_f32_e32 v38, v19, v11
	v_sub_f32_e32 v40, v19, v11
	v_sub_f32_e32 v43, v18, v14
	v_add_f32_e32 v47, v18, v14
	v_mul_f32_e32 v30, 0x3ed4b147, v35
	v_mul_f32_e32 v31, 0xbf27a4f4, v35
	;; [unrolled: 1-line block ×5, first 2 shown]
	v_fmamk_f32 v81, v21, 0x3f575c64, v50
	v_fmamk_f32 v82, v22, 0x3f0a6770, v51
	v_fma_f32 v50, 0x3f575c64, v21, -v50
	v_fmac_f32_e32 v51, 0xbf0a6770, v22
	v_fmamk_f32 v83, v21, 0x3ed4b147, v52
	v_fmamk_f32 v84, v22, 0x3f68dda4, v53
	v_fma_f32 v52, 0x3ed4b147, v21, -v52
	v_fmac_f32_e32 v53, 0xbf68dda4, v22
	;; [unrolled: 4-line block ×4, first 2 shown]
	v_fmamk_f32 v89, v21, 0xbf75a155, v32
	v_fma_f32 v21, 0xbf75a155, v21, -v32
	v_fmamk_f32 v32, v22, 0x3e903f40, v33
	v_fmac_f32_e32 v33, 0xbe903f40, v22
	v_add_f32_e32 v19, v23, v19
	v_add_f32_e32 v18, v20, v18
	;; [unrolled: 1-line block ×4, first 2 shown]
	v_sub_f32_e32 v46, v17, v16
	v_sub_f32_e32 v48, v15, v12
	v_mul_f32_e32 v58, 0xbf68dda4, v34
	v_mul_f32_e32 v59, 0xbf4178ce, v34
	v_mul_f32_e32 v60, 0x3e903f40, v34
	v_mul_f32_e32 v61, 0x3f7d64f0, v34
	v_mul_f32_e32 v34, 0x3f0a6770, v34
	v_mul_f32_e32 v68, 0xbe11bafb, v39
	v_mul_f32_e32 v69, 0xbf75a155, v39
	v_mul_f32_e32 v70, 0x3ed4b147, v39
	v_mul_f32_e32 v71, 0x3f575c64, v39
	v_mul_f32_e32 v39, 0xbf27a4f4, v39
	v_fmamk_f32 v97, v36, 0xbf0a6770, v35
	v_fmac_f32_e32 v35, 0x3f0a6770, v36
	v_add_f32_e32 v82, v82, v2
	v_add_f32_e32 v51, v51, v2
	;; [unrolled: 1-line block ×12, first 2 shown]
	v_mul_f32_e32 v64, 0xbf7d64f0, v37
	v_mul_f32_e32 v65, 0x3e903f40, v37
	;; [unrolled: 1-line block ×5, first 2 shown]
	v_fmamk_f32 v22, v24, 0x3ed4b147, v58
	v_fma_f32 v58, 0x3ed4b147, v24, -v58
	v_fmamk_f32 v90, v24, 0xbf27a4f4, v59
	v_fma_f32 v59, 0xbf27a4f4, v24, -v59
	;; [unrolled: 2-line block ×5, first 2 shown]
	v_fmamk_f32 v95, v36, 0xbe903f40, v62
	v_fmamk_f32 v103, v40, 0x3f4178ce, v39
	v_fmac_f32_e32 v39, 0xbf4178ce, v40
	v_add_f32_e32 v81, v81, v1
	v_add_f32_e32 v50, v50, v1
	v_add_f32_e32 v83, v83, v1
	v_add_f32_e32 v52, v52, v1
	v_add_f32_e32 v85, v85, v1
	v_add_f32_e32 v54, v54, v1
	v_add_f32_e32 v87, v87, v1
	v_add_f32_e32 v56, v56, v1
	v_add_f32_e32 v89, v89, v1
	v_add_f32_e32 v1, v21, v1
	v_add_f32_e32 v2, v35, v2
	v_add_f32_e32 v15, v15, v7
	v_add_f32_e32 v16, v17, v16
	v_mul_f32_e32 v78, 0x3f575c64, v47
	v_fmamk_f32 v34, v36, 0x3f68dda4, v30
	v_fmac_f32_e32 v30, 0xbf68dda4, v36
	v_fmamk_f32 v94, v36, 0x3f4178ce, v31
	v_fmac_f32_e32 v31, 0xbf4178ce, v36
	v_fmac_f32_e32 v62, 0x3e903f40, v36
	v_fmamk_f32 v96, v36, 0xbf7d64f0, v63
	v_fmac_f32_e32 v63, 0x3f7d64f0, v36
	v_fmamk_f32 v36, v38, 0xbe11bafb, v64
	v_fma_f32 v64, 0xbe11bafb, v38, -v64
	v_fmamk_f32 v98, v38, 0xbf75a155, v65
	v_fma_f32 v65, 0xbf75a155, v38, -v65
	;; [unrolled: 2-line block ×5, first 2 shown]
	v_fmamk_f32 v38, v40, 0xbf68dda4, v70
	v_add_f32_e32 v52, v59, v52
	v_add_f32_e32 v59, v95, v86
	v_add_f32_e32 v1, v24, v1
	v_add_f32_e32 v15, v15, v8
	v_add_f32_e32 v39, v39, v2
	v_add_f32_e32 v2, v16, v14
	v_mul_f32_e32 v72, 0xbf4178ce, v43
	v_mul_f32_e32 v73, 0x3f7d64f0, v43
	;; [unrolled: 1-line block ×6, first 2 shown]
	v_fmamk_f32 v23, v40, 0x3f7d64f0, v68
	v_fmamk_f32 v20, v48, 0x3f0a6770, v78
	v_add_f32_e32 v22, v22, v81
	v_add_f32_e32 v34, v34, v82
	;; [unrolled: 1-line block ×7, first 2 shown]
	v_mul_f32_e32 v80, 0xbe903f40, v46
	v_fmac_f32_e32 v68, 0xbf7d64f0, v40
	v_fmamk_f32 v29, v40, 0xbe903f40, v69
	v_fmac_f32_e32 v69, 0x3e903f40, v40
	v_fmac_f32_e32 v70, 0x3f68dda4, v40
	v_fmamk_f32 v102, v40, 0x3f0a6770, v71
	v_fmac_f32_e32 v71, 0xbf0a6770, v40
	v_fmamk_f32 v40, v44, 0xbf27a4f4, v72
	v_fma_f32 v72, 0xbf27a4f4, v44, -v72
	v_fmamk_f32 v104, v44, 0xbe11bafb, v73
	v_fma_f32 v73, 0xbe11bafb, v44, -v73
	;; [unrolled: 2-line block ×5, first 2 shown]
	v_fmamk_f32 v44, v48, 0x3f4178ce, v76
	v_add_f32_e32 v50, v58, v50
	v_add_f32_e32 v30, v30, v51
	;; [unrolled: 1-line block ×7, first 2 shown]
	v_sub_f32_e32 v35, v7, v8
	v_mul_f32_e32 v8, 0xbf75a155, v45
	v_mul_f32_e32 v77, 0xbe11bafb, v47
	v_fmac_f32_e32 v76, 0xbf4178ce, v48
	v_add_f32_e32 v51, v90, v83
	v_add_f32_e32 v58, v94, v84
	;; [unrolled: 1-line block ×10, first 2 shown]
	v_fmamk_f32 v3, v49, 0xbf75a155, v80
	v_fmamk_f32 v4, v35, 0x3e903f40, v8
	v_mul_f32_e32 v79, 0xbf75a155, v47
	v_mul_f32_e32 v47, 0x3ed4b147, v47
	v_fmamk_f32 v106, v48, 0xbf7d64f0, v77
	v_add_f32_e32 v54, v60, v54
	v_add_f32_e32 v18, v97, v32
	;; [unrolled: 1-line block ×9, first 2 shown]
	v_mul_f32_e32 v10, 0x3f0a6770, v46
	v_add_f32_e32 v3, v3, v12
	v_fma_f32 v7, 0xbf75a155, v49, -v80
	v_fmac_f32_e32 v8, 0xbe903f40, v35
	v_add_f32_e32 v4, v4, v14
	v_mul_f32_e32 v12, 0x3f575c64, v45
	v_mul_f32_e32 v14, 0xbf4178ce, v46
	v_fmamk_f32 v81, v48, 0xbf68dda4, v47
	v_add_f32_e32 v55, v62, v55
	v_add_f32_e32 v60, v92, v87
	;; [unrolled: 1-line block ×9, first 2 shown]
	v_fmamk_f32 v9, v49, 0x3f575c64, v10
	v_add_f32_e32 v7, v7, v15
	v_add_f32_e32 v8, v8, v16
	v_fmamk_f32 v11, v35, 0xbf0a6770, v12
	v_fma_f32 v13, 0x3f575c64, v49, -v10
	v_fmamk_f32 v15, v49, 0xbf27a4f4, v14
	v_mul_f32_e32 v16, 0xbf27a4f4, v45
	v_fmac_f32_e32 v77, 0x3f7d64f0, v48
	v_fmac_f32_e32 v78, 0xbf0a6770, v48
	v_fmamk_f32 v19, v48, 0x3e903f40, v79
	v_add_f32_e32 v56, v61, v56
	v_add_f32_e32 v57, v63, v57
	;; [unrolled: 1-line block ×13, first 2 shown]
	v_fmamk_f32 v15, v35, 0x3f4178ce, v16
	v_mul_f32_e32 v18, 0x3f68dda4, v46
	v_fma_f32 v17, 0xbf27a4f4, v49, -v14
	v_mul_f32_e32 v21, 0x3ed4b147, v45
	v_fmac_f32_e32 v79, 0xbe903f40, v48
	v_add_f32_e32 v52, v67, v56
	v_add_f32_e32 v53, v71, v57
	;; [unrolled: 1-line block ×7, first 2 shown]
	v_fmac_f32_e32 v12, 0x3f0a6770, v35
	v_fmac_f32_e32 v16, 0xbf4178ce, v35
	v_add_f32_e32 v14, v15, v20
	v_fmamk_f32 v20, v49, 0x3ed4b147, v18
	v_add_f32_e32 v15, v17, v29
	v_fmamk_f32 v22, v35, 0xbf68dda4, v21
	v_mul_f32_e32 v23, 0xbf7d64f0, v46
	v_mul_u32_u24_e32 v29, 0x21e, v0
	v_add_f32_e32 v32, v75, v52
	v_add_f32_e32 v33, v79, v53
	;; [unrolled: 1-line block ×3, first 2 shown]
	v_fmac_f32_e32 v47, 0x3f68dda4, v48
	v_add_f32_e32 v37, v43, v37
	v_add_f32_e32 v12, v12, v24
	;; [unrolled: 1-line block ×4, first 2 shown]
	v_fma_f32 v20, 0x3ed4b147, v49, -v18
	v_add_f32_e32 v18, v22, v19
	v_fmac_f32_e32 v21, 0x3f68dda4, v35
	v_fmamk_f32 v22, v49, 0xbe11bafb, v23
	v_mul_f32_e32 v24, 0xbe11bafb, v45
	v_mov_b32_e32 v30, 3
	v_lshrrev_b32_e32 v43, 16, v29
	v_add_f32_e32 v38, v47, v39
	v_add_f32_e32 v19, v20, v32
	;; [unrolled: 1-line block ×4, first 2 shown]
	v_fmamk_f32 v22, v35, 0x3f7d64f0, v24
	v_fma_f32 v23, 0xbe11bafb, v49, -v23
	v_fmac_f32_e32 v24, 0xbf7d64f0, v35
	v_mul_u32_u24_e32 v29, 0x3c8, v5
	v_lshlrev_b32_sdwa v31, v30, v6 dst_sel:DWORD dst_unused:UNUSED_PAD src0_sel:DWORD src1_sel:WORD_0
	v_mul_lo_u16 v32, 0x79, v43
	v_add_f32_e32 v5, v23, v37
	v_add_f32_e32 v6, v24, v38
	;; [unrolled: 1-line block ×3, first 2 shown]
	v_add3_u32 v23, 0, v29, v31
	v_sub_nc_u16 v24, v0, v32
	ds_write2_b64 v23, v[1:2], v[3:4] offset1:11
	v_mul_lo_u16 v1, v24, 10
	ds_write2_b64 v23, v[9:10], v[13:14] offset0:22 offset1:33
	ds_write2_b64 v23, v[17:18], v[21:22] offset0:44 offset1:55
	ds_write2_b64 v23, v[5:6], v[19:20] offset0:66 offset1:77
	ds_write2_b64 v23, v[15:16], v[11:12] offset0:88 offset1:99
	ds_write_b64 v23, v[7:8] offset:880
	s_waitcnt lgkmcnt(0)
	s_barrier
	v_lshlrev_b32_sdwa v1, v30, v1 dst_sel:DWORD dst_unused:UNUSED_PAD src0_sel:DWORD src1_sel:WORD_0
	buffer_gl0_inv
	s_clause 0x4
	global_load_dwordx4 v[17:20], v1, s[8:9] offset:880
	global_load_dwordx4 v[13:16], v1, s[8:9] offset:896
	;; [unrolled: 1-line block ×5, first 2 shown]
	ds_read2_b64 v[1:4], v42 offset1:121
	ds_read2_b64 v[37:40], v25 offset0:114 offset1:235
	ds_read2_b64 v[33:36], v27 offset0:100 offset1:221
	;; [unrolled: 1-line block ×4, first 2 shown]
	ds_read_b64 v[44:45], v42 offset:9680
	s_waitcnt vmcnt(4) lgkmcnt(5)
	v_mul_f32_e32 v42, v18, v4
	v_mul_f32_e32 v18, v18, v3
	s_waitcnt lgkmcnt(4)
	v_mul_f32_e32 v46, v20, v38
	v_mul_f32_e32 v20, v20, v37
	s_waitcnt vmcnt(2) lgkmcnt(3)
	v_mul_f32_e32 v49, v10, v36
	v_mul_f32_e32 v10, v10, v35
	s_waitcnt lgkmcnt(2)
	v_mul_f32_e32 v50, v30, v12
	v_mul_f32_e32 v12, v29, v12
	s_waitcnt vmcnt(1)
	v_mul_f32_e32 v51, v32, v6
	v_mul_f32_e32 v6, v31, v6
	s_waitcnt lgkmcnt(1)
	v_mul_f32_e32 v52, v26, v8
	v_mul_f32_e32 v8, v25, v8
	s_waitcnt vmcnt(0)
	v_mul_f32_e32 v53, v28, v22
	v_mul_f32_e32 v22, v27, v22
	v_fmac_f32_e32 v42, v17, v3
	v_fma_f32 v3, v17, v4, -v18
	v_mul_f32_e32 v47, v14, v40
	v_mul_f32_e32 v14, v14, v39
	s_waitcnt lgkmcnt(0)
	v_mul_f32_e32 v54, v45, v24
	v_mul_f32_e32 v24, v44, v24
	v_fma_f32 v4, v19, v38, -v20
	v_fmac_f32_e32 v49, v9, v35
	v_fma_f32 v9, v9, v36, -v10
	v_fma_f32 v10, v30, v11, -v12
	v_fmac_f32_e32 v51, v31, v5
	v_fma_f32 v5, v32, v5, -v6
	v_fma_f32 v6, v26, v7, -v8
	v_fma_f32 v8, v28, v21, -v22
	v_add_f32_e32 v12, v3, v2
	v_mul_f32_e32 v48, v16, v34
	v_mul_f32_e32 v16, v16, v33
	v_fmac_f32_e32 v46, v19, v37
	v_fmac_f32_e32 v47, v13, v39
	v_fma_f32 v13, v13, v40, -v14
	v_fmac_f32_e32 v52, v25, v7
	v_fmac_f32_e32 v53, v27, v21
	v_fma_f32 v7, v45, v23, -v24
	v_add_f32_e32 v19, v4, v8
	v_sub_f32_e32 v21, v4, v8
	v_add_f32_e32 v4, v12, v4
	v_fma_f32 v14, v15, v34, -v16
	v_fmac_f32_e32 v54, v44, v23
	v_add_f32_e32 v16, v3, v7
	v_sub_f32_e32 v3, v3, v7
	v_add_f32_e32 v4, v4, v13
	v_fmac_f32_e32 v48, v15, v33
	v_fmac_f32_e32 v50, v29, v11
	v_add_f32_e32 v11, v42, v1
	v_add_f32_e32 v15, v42, v54
	v_sub_f32_e32 v17, v42, v54
	v_mul_f32_e32 v12, 0xbf0a6770, v3
	v_mul_f32_e32 v34, 0x3f575c64, v16
	v_add_f32_e32 v4, v4, v14
	v_add_f32_e32 v18, v46, v53
	v_sub_f32_e32 v20, v46, v53
	v_sub_f32_e32 v22, v13, v6
	v_add_f32_e32 v24, v13, v6
	v_add_f32_e32 v11, v11, v46
	v_mul_f32_e32 v35, 0xbf68dda4, v3
	v_mul_f32_e32 v36, 0x3ed4b147, v16
	;; [unrolled: 1-line block ×10, first 2 shown]
	v_fmamk_f32 v78, v15, 0x3f575c64, v12
	v_fmamk_f32 v79, v17, 0x3f0a6770, v34
	v_fma_f32 v12, 0x3f575c64, v15, -v12
	v_add_f32_e32 v4, v4, v9
	v_add_f32_e32 v23, v47, v52
	v_sub_f32_e32 v25, v47, v52
	v_sub_f32_e32 v26, v14, v5
	v_add_f32_e32 v28, v14, v5
	v_mul_f32_e32 v45, 0xbf4178ce, v21
	v_mul_f32_e32 v46, 0xbf27a4f4, v19
	;; [unrolled: 1-line block ×10, first 2 shown]
	v_fmac_f32_e32 v34, 0xbf0a6770, v17
	v_fmamk_f32 v80, v15, 0x3ed4b147, v35
	v_fmamk_f32 v81, v17, 0x3f68dda4, v36
	v_fma_f32 v35, 0x3ed4b147, v15, -v35
	v_fmac_f32_e32 v36, 0xbf68dda4, v17
	v_fmamk_f32 v82, v15, 0xbe11bafb, v37
	v_fmamk_f32 v83, v17, 0x3f7d64f0, v38
	v_fma_f32 v37, 0xbe11bafb, v15, -v37
	;; [unrolled: 4-line block ×5, first 2 shown]
	v_add_f32_e32 v11, v11, v47
	v_add_f32_e32 v78, v78, v1
	;; [unrolled: 1-line block ×6, first 2 shown]
	v_sub_f32_e32 v29, v48, v51
	v_sub_f32_e32 v31, v9, v10
	v_add_f32_e32 v32, v9, v10
	v_mul_f32_e32 v60, 0x3e903f40, v22
	v_mul_f32_e32 v61, 0x3f68dda4, v22
	;; [unrolled: 1-line block ×14, first 2 shown]
	v_fmac_f32_e32 v44, 0xbf68dda4, v20
	v_fmamk_f32 v88, v18, 0xbf27a4f4, v45
	v_fma_f32 v45, 0xbf27a4f4, v18, -v45
	v_fmamk_f32 v89, v18, 0xbf75a155, v55
	v_fma_f32 v55, 0xbf75a155, v18, -v55
	;; [unrolled: 2-line block ×4, first 2 shown]
	v_fmamk_f32 v21, v20, 0x3f4178ce, v46
	v_fmac_f32_e32 v46, 0xbf4178ce, v20
	v_fmamk_f32 v92, v20, 0xbe903f40, v56
	v_fmac_f32_e32 v56, 0x3e903f40, v20
	;; [unrolled: 2-line block ×4, first 2 shown]
	v_fmamk_f32 v20, v23, 0xbe11bafb, v59
	v_fma_f32 v59, 0xbe11bafb, v23, -v59
	v_fmamk_f32 v13, v25, 0x3f7d64f0, v63
	v_add_f32_e32 v34, v34, v2
	v_add_f32_e32 v80, v80, v1
	;; [unrolled: 1-line block ×23, first 2 shown]
	v_sub_f32_e32 v33, v49, v50
	v_mul_f32_e32 v72, 0xbe11bafb, v28
	v_mul_f32_e32 v73, 0x3f575c64, v28
	;; [unrolled: 1-line block ×6, first 2 shown]
	v_fmamk_f32 v95, v23, 0xbf75a155, v60
	v_fma_f32 v60, 0xbf75a155, v23, -v60
	v_fmamk_f32 v96, v23, 0x3ed4b147, v61
	v_fma_f32 v61, 0x3ed4b147, v23, -v61
	;; [unrolled: 2-line block ×4, first 2 shown]
	v_fmac_f32_e32 v63, 0xbf7d64f0, v25
	v_fmamk_f32 v23, v25, 0xbe903f40, v64
	v_fmac_f32_e32 v64, 0x3e903f40, v25
	v_fmamk_f32 v47, v25, 0xbf68dda4, v65
	;; [unrolled: 2-line block ×5, first 2 shown]
	v_fma_f32 v67, 0xbf27a4f4, v27, -v67
	v_fmamk_f32 v101, v27, 0xbe11bafb, v68
	v_fma_f32 v68, 0xbe11bafb, v27, -v68
	v_fmamk_f32 v102, v27, 0x3f575c64, v69
	;; [unrolled: 2-line block ×5, first 2 shown]
	v_add_f32_e32 v17, v44, v34
	v_add_f32_e32 v34, v88, v80
	;; [unrolled: 1-line block ×15, first 2 shown]
	v_mul_f32_e32 v77, 0x3f0a6770, v31
	v_fmac_f32_e32 v71, 0xbf4178ce, v29
	v_fmamk_f32 v3, v29, 0xbf7d64f0, v72
	v_fmac_f32_e32 v72, 0x3f7d64f0, v29
	v_fmamk_f32 v16, v29, 0x3f0a6770, v73
	v_fmac_f32_e32 v73, 0xbf0a6770, v29
	v_fmamk_f32 v105, v29, 0x3e903f40, v74
	v_fmac_f32_e32 v74, 0xbe903f40, v29
	v_fmamk_f32 v106, v29, 0xbf68dda4, v28
	v_fmac_f32_e32 v28, 0x3f68dda4, v29
	v_fmamk_f32 v29, v30, 0xbf75a155, v75
	v_fmamk_f32 v48, v33, 0x3e903f40, v76
	v_fma_f32 v75, 0xbf75a155, v30, -v75
	v_add_f32_e32 v36, v46, v36
	v_add_f32_e32 v42, v89, v82
	v_add_f32_e32 v11, v11, v50
	v_add_f32_e32 v14, v63, v17
	v_add_f32_e32 v15, v95, v34
	v_add_f32_e32 v17, v23, v21
	v_add_f32_e32 v18, v60, v35
	v_add_f32_e32 v21, v47, v44
	v_add_f32_e32 v34, v65, v38
	v_add_f32_e32 v35, v97, v45
	v_add_f32_e32 v9, v100, v9
	v_add_f32_e32 v1, v22, v1
	v_add_f32_e32 v2, v24, v2
	v_add_f32_e32 v5, v25, v10
	v_add_f32_e32 v10, v27, v13
	v_add_f32_e32 v12, v67, v12
	v_add_f32_e32 v4, v4, v8
	v_add_f32_e32 v37, v55, v37
	v_add_f32_e32 v19, v64, v36
	v_add_f32_e32 v20, v96, v42
	v_add_f32_e32 v11, v11, v51
	v_add_f32_e32 v13, v71, v14
	v_add_f32_e32 v14, v101, v15
	v_add_f32_e32 v15, v3, v17
	v_add_f32_e32 v17, v68, v18
	v_add_f32_e32 v16, v16, v21
	v_add_f32_e32 v21, v73, v34
	v_add_f32_e32 v22, v103, v35
	v_add_f32_e32 v34, v106, v9
	v_add_f32_e32 v35, v26, v1
	v_add_f32_e32 v28, v28, v2
	v_add_f32_e32 v1, v29, v5
	v_add_f32_e32 v2, v48, v10
	v_add_f32_e32 v4, v4, v7
	v_mul_f32_e32 v10, 0x3f575c64, v32
	v_add_f32_e32 v5, v75, v12
	v_fmamk_f32 v7, v30, 0x3f575c64, v77
	v_mul_f32_e32 v12, 0xbf4178ce, v31
	v_fma_f32 v9, 0x3f575c64, v30, -v77
	v_fmac_f32_e32 v76, 0xbe903f40, v33
	v_add_f32_e32 v23, v61, v37
	v_add_f32_e32 v18, v72, v19
	;; [unrolled: 1-line block ×4, first 2 shown]
	v_fmamk_f32 v8, v33, 0xbf0a6770, v10
	v_add_f32_e32 v7, v7, v14
	v_fmamk_f32 v11, v30, 0xbf27a4f4, v12
	v_add_f32_e32 v9, v9, v17
	v_mul_f32_e32 v14, 0xbf27a4f4, v32
	v_mul_f32_e32 v17, 0x3f68dda4, v31
	v_add_f32_e32 v20, v69, v23
	v_add_f32_e32 v6, v76, v13
	;; [unrolled: 1-line block ×4, first 2 shown]
	v_fmamk_f32 v13, v33, 0x3f4178ce, v14
	v_fma_f32 v15, 0xbf27a4f4, v30, -v12
	v_fmamk_f32 v19, v30, 0x3ed4b147, v17
	v_add_f32_e32 v39, v57, v39
	v_add_f32_e32 v55, v91, v86
	;; [unrolled: 1-line block ×5, first 2 shown]
	v_mul_lo_u16 v19, 0x4ba, v43
	v_fmac_f32_e32 v14, 0xbf4178ce, v33
	v_add_f32_e32 v40, v58, v40
	v_add_f32_e32 v46, v93, v85
	;; [unrolled: 1-line block ×3, first 2 shown]
	v_add_nc_u32_sdwa v0, v0, v19 dst_sel:DWORD dst_unused:UNUSED_PAD src0_sel:DWORD src1_sel:WORD_0
	v_add_f32_e32 v39, v98, v55
	v_fmac_f32_e32 v10, 0x3f0a6770, v33
	v_add_f32_e32 v14, v14, v21
	v_mul_f32_e32 v21, 0xbf7d64f0, v31
	v_mul_f32_e32 v29, 0xbe11bafb, v32
	v_add_f32_e32 v38, v66, v40
	v_mul_lo_u32 v40, v0, s23
	v_add_f32_e32 v36, v99, v46
	v_add_f32_e32 v27, v104, v39
	;; [unrolled: 1-line block ×3, first 2 shown]
	v_mul_f32_e32 v18, 0x3ed4b147, v32
	v_fmamk_f32 v20, v30, 0xbe11bafb, v21
	v_fmamk_f32 v22, v33, 0x3f7d64f0, v29
	s_mulk_i32 s23, 0x79
	v_add_f32_e32 v23, v105, v36
	v_add_f32_e32 v24, v70, v37
	v_fmamk_f32 v26, v33, 0xbf68dda4, v18
	v_fma_f32 v17, 0x3ed4b147, v30, -v17
	v_add_f32_e32 v19, v20, v27
	v_add_f32_e32 v20, v22, v34
	v_fma_f32 v0, 0xbe11bafb, v30, -v21
	v_lshlrev_b64 v[21:22], 3, v[40:41]
	v_add_nc_u32_e32 v40, s23, v40
	v_add_f32_e32 v16, v26, v23
	v_add_f32_e32 v17, v17, v24
	;; [unrolled: 1-line block ×4, first 2 shown]
	v_lshlrev_b64 v[23:24], 3, v[40:41]
	v_fmac_f32_e32 v18, 0x3f68dda4, v33
	v_add_nc_u32_e32 v40, s23, v40
	v_add_co_u32 v21, vcc_lo, s0, v21
	v_add_co_ci_u32_e32 v22, vcc_lo, s1, v22, vcc_lo
	v_add_co_u32 v23, vcc_lo, s0, v23
	v_add_f32_e32 v3, v3, v54
	v_add_f32_e32 v18, v18, v25
	v_lshlrev_b64 v[25:26], 3, v[40:41]
	v_add_nc_u32_e32 v40, s23, v40
	v_add_co_ci_u32_e32 v24, vcc_lo, s1, v24, vcc_lo
	v_add_f32_e32 v27, v0, v35
	global_store_dwordx2 v[21:22], v[3:4], off
	global_store_dwordx2 v[23:24], v[1:2], off
	v_lshlrev_b64 v[0:1], 3, v[40:41]
	v_add_nc_u32_e32 v40, s23, v40
	v_add_co_u32 v2, vcc_lo, s0, v25
	v_add_co_ci_u32_e32 v3, vcc_lo, s1, v26, vcc_lo
	v_lshlrev_b64 v[21:22], 3, v[40:41]
	v_add_nc_u32_e32 v40, s23, v40
	v_add_co_u32 v0, vcc_lo, s0, v0
	v_add_co_ci_u32_e32 v1, vcc_lo, s1, v1, vcc_lo
	;; [unrolled: 4-line block ×4, first 2 shown]
	global_store_dwordx2 v[2:3], v[7:8], off
	global_store_dwordx2 v[0:1], v[11:12], off
	;; [unrolled: 1-line block ×4, first 2 shown]
	v_lshlrev_b64 v[0:1], 3, v[40:41]
	v_add_nc_u32_e32 v40, s23, v40
	v_add_co_u32 v2, vcc_lo, s0, v25
	v_add_co_ci_u32_e32 v3, vcc_lo, s1, v26, vcc_lo
	v_lshlrev_b64 v[7:8], 3, v[40:41]
	v_add_nc_u32_e32 v40, s23, v40
	v_add_co_u32 v0, vcc_lo, s0, v0
	v_fmac_f32_e32 v29, 0xbf7d64f0, v33
	v_add_co_ci_u32_e32 v1, vcc_lo, s1, v1, vcc_lo
	v_lshlrev_b64 v[11:12], 3, v[40:41]
	v_add_nc_u32_e32 v40, s23, v40
	v_add_co_u32 v7, vcc_lo, s0, v7
	v_add_co_ci_u32_e32 v8, vcc_lo, s1, v8, vcc_lo
	v_lshlrev_b64 v[15:16], 3, v[40:41]
	v_add_co_u32 v11, vcc_lo, s0, v11
	v_add_f32_e32 v28, v29, v28
	v_add_co_ci_u32_e32 v12, vcc_lo, s1, v12, vcc_lo
	v_add_co_u32 v15, vcc_lo, s0, v15
	v_add_co_ci_u32_e32 v16, vcc_lo, s1, v16, vcc_lo
	global_store_dwordx2 v[2:3], v[27:28], off
	global_store_dwordx2 v[0:1], v[17:18], off
	global_store_dwordx2 v[7:8], v[13:14], off
	global_store_dwordx2 v[11:12], v[9:10], off
	global_store_dwordx2 v[15:16], v[5:6], off
	s_endpgm
	.section	.rodata,"a",@progbits
	.p2align	6, 0x0
	.amdhsa_kernel fft_rtc_back_len1331_factors_11_11_11_wgs_121_tpt_121_sp_op_CI_CI_sbrc_z_xy_aligned_dirReg
		.amdhsa_group_segment_fixed_size 0
		.amdhsa_private_segment_fixed_size 0
		.amdhsa_kernarg_size 104
		.amdhsa_user_sgpr_count 6
		.amdhsa_user_sgpr_private_segment_buffer 1
		.amdhsa_user_sgpr_dispatch_ptr 0
		.amdhsa_user_sgpr_queue_ptr 0
		.amdhsa_user_sgpr_kernarg_segment_ptr 1
		.amdhsa_user_sgpr_dispatch_id 0
		.amdhsa_user_sgpr_flat_scratch_init 0
		.amdhsa_user_sgpr_private_segment_size 0
		.amdhsa_wavefront_size32 1
		.amdhsa_uses_dynamic_stack 0
		.amdhsa_system_sgpr_private_segment_wavefront_offset 0
		.amdhsa_system_sgpr_workgroup_id_x 1
		.amdhsa_system_sgpr_workgroup_id_y 0
		.amdhsa_system_sgpr_workgroup_id_z 0
		.amdhsa_system_sgpr_workgroup_info 0
		.amdhsa_system_vgpr_workitem_id 0
		.amdhsa_next_free_vgpr 107
		.amdhsa_next_free_sgpr 30
		.amdhsa_reserve_vcc 1
		.amdhsa_reserve_flat_scratch 0
		.amdhsa_float_round_mode_32 0
		.amdhsa_float_round_mode_16_64 0
		.amdhsa_float_denorm_mode_32 3
		.amdhsa_float_denorm_mode_16_64 3
		.amdhsa_dx10_clamp 1
		.amdhsa_ieee_mode 1
		.amdhsa_fp16_overflow 0
		.amdhsa_workgroup_processor_mode 1
		.amdhsa_memory_ordered 1
		.amdhsa_forward_progress 0
		.amdhsa_shared_vgpr_count 0
		.amdhsa_exception_fp_ieee_invalid_op 0
		.amdhsa_exception_fp_denorm_src 0
		.amdhsa_exception_fp_ieee_div_zero 0
		.amdhsa_exception_fp_ieee_overflow 0
		.amdhsa_exception_fp_ieee_underflow 0
		.amdhsa_exception_fp_ieee_inexact 0
		.amdhsa_exception_int_div_zero 0
	.end_amdhsa_kernel
	.text
.Lfunc_end0:
	.size	fft_rtc_back_len1331_factors_11_11_11_wgs_121_tpt_121_sp_op_CI_CI_sbrc_z_xy_aligned_dirReg, .Lfunc_end0-fft_rtc_back_len1331_factors_11_11_11_wgs_121_tpt_121_sp_op_CI_CI_sbrc_z_xy_aligned_dirReg
                                        ; -- End function
	.section	.AMDGPU.csdata,"",@progbits
; Kernel info:
; codeLenInByte = 8968
; NumSgprs: 32
; NumVgprs: 107
; ScratchSize: 0
; MemoryBound: 0
; FloatMode: 240
; IeeeMode: 1
; LDSByteSize: 0 bytes/workgroup (compile time only)
; SGPRBlocks: 3
; VGPRBlocks: 13
; NumSGPRsForWavesPerEU: 32
; NumVGPRsForWavesPerEU: 107
; Occupancy: 9
; WaveLimiterHint : 1
; COMPUTE_PGM_RSRC2:SCRATCH_EN: 0
; COMPUTE_PGM_RSRC2:USER_SGPR: 6
; COMPUTE_PGM_RSRC2:TRAP_HANDLER: 0
; COMPUTE_PGM_RSRC2:TGID_X_EN: 1
; COMPUTE_PGM_RSRC2:TGID_Y_EN: 0
; COMPUTE_PGM_RSRC2:TGID_Z_EN: 0
; COMPUTE_PGM_RSRC2:TIDIG_COMP_CNT: 0
	.text
	.p2alignl 6, 3214868480
	.fill 48, 4, 3214868480
	.type	__hip_cuid_cc542aa444b90e00,@object ; @__hip_cuid_cc542aa444b90e00
	.section	.bss,"aw",@nobits
	.globl	__hip_cuid_cc542aa444b90e00
__hip_cuid_cc542aa444b90e00:
	.byte	0                               ; 0x0
	.size	__hip_cuid_cc542aa444b90e00, 1

	.ident	"AMD clang version 19.0.0git (https://github.com/RadeonOpenCompute/llvm-project roc-6.4.0 25133 c7fe45cf4b819c5991fe208aaa96edf142730f1d)"
	.section	".note.GNU-stack","",@progbits
	.addrsig
	.addrsig_sym __hip_cuid_cc542aa444b90e00
	.amdgpu_metadata
---
amdhsa.kernels:
  - .args:
      - .actual_access:  read_only
        .address_space:  global
        .offset:         0
        .size:           8
        .value_kind:     global_buffer
      - .offset:         8
        .size:           8
        .value_kind:     by_value
      - .actual_access:  read_only
        .address_space:  global
        .offset:         16
        .size:           8
        .value_kind:     global_buffer
      - .actual_access:  read_only
        .address_space:  global
        .offset:         24
        .size:           8
        .value_kind:     global_buffer
      - .actual_access:  read_only
        .address_space:  global
        .offset:         32
        .size:           8
        .value_kind:     global_buffer
      - .offset:         40
        .size:           8
        .value_kind:     by_value
      - .actual_access:  read_only
        .address_space:  global
        .offset:         48
        .size:           8
        .value_kind:     global_buffer
      - .actual_access:  read_only
        .address_space:  global
        .offset:         56
        .size:           8
        .value_kind:     global_buffer
      - .offset:         64
        .size:           4
        .value_kind:     by_value
      - .actual_access:  read_only
        .address_space:  global
        .offset:         72
        .size:           8
        .value_kind:     global_buffer
      - .actual_access:  read_only
        .address_space:  global
        .offset:         80
        .size:           8
        .value_kind:     global_buffer
      - .actual_access:  read_only
        .address_space:  global
        .offset:         88
        .size:           8
        .value_kind:     global_buffer
      - .actual_access:  write_only
        .address_space:  global
        .offset:         96
        .size:           8
        .value_kind:     global_buffer
    .group_segment_fixed_size: 0
    .kernarg_segment_align: 8
    .kernarg_segment_size: 104
    .language:       OpenCL C
    .language_version:
      - 2
      - 0
    .max_flat_workgroup_size: 121
    .name:           fft_rtc_back_len1331_factors_11_11_11_wgs_121_tpt_121_sp_op_CI_CI_sbrc_z_xy_aligned_dirReg
    .private_segment_fixed_size: 0
    .sgpr_count:     32
    .sgpr_spill_count: 0
    .symbol:         fft_rtc_back_len1331_factors_11_11_11_wgs_121_tpt_121_sp_op_CI_CI_sbrc_z_xy_aligned_dirReg.kd
    .uniform_work_group_size: 1
    .uses_dynamic_stack: false
    .vgpr_count:     107
    .vgpr_spill_count: 0
    .wavefront_size: 32
    .workgroup_processor_mode: 1
amdhsa.target:   amdgcn-amd-amdhsa--gfx1030
amdhsa.version:
  - 1
  - 2
...

	.end_amdgpu_metadata
